;; amdgpu-corpus repo=ROCm/rocm-examples kind=compiled arch=gfx950 opt=O3
	.amdgcn_target "amdgcn-amd-amdhsa--gfx950"
	.amdhsa_code_object_version 6
	.text
	.protected	_Z12dlrm_dot_fwdPKDF16_PDF16_Pfjjjjjj ; -- Begin function _Z12dlrm_dot_fwdPKDF16_PDF16_Pfjjjjjj
	.globl	_Z12dlrm_dot_fwdPKDF16_PDF16_Pfjjjjjj
	.p2align	8
	.type	_Z12dlrm_dot_fwdPKDF16_PDF16_Pfjjjjjj,@function
_Z12dlrm_dot_fwdPKDF16_PDF16_Pfjjjjjj:  ; @_Z12dlrm_dot_fwdPKDF16_PDF16_Pfjjjjjj
; %bb.0:
	s_load_dwordx4 s[12:15], s[0:1], 0x24
	s_load_dword s5, s[0:1], 0x3c
	s_load_dwordx4 s[8:11], s[0:1], 0x0
	s_load_dwordx2 s[6:7], s[0:1], 0x18
	s_add_u32 s16, s0, 48
	s_addc_u32 s17, s1, 0
	s_waitcnt lgkmcnt(0)
	s_and_b32 s15, s5, 0xffff
	s_mul_i32 s5, s2, s15
	s_or_b32 s2, s2, s3
	s_cmp_lg_u32 s2, 0
	s_cselect_b64 s[18:19], -1, 0
	s_cmpk_lt_u32 s7, 0x80
	s_cselect_b64 s[20:21], -1, 0
	v_and_b32_e32 v5, 0x3ff, v0
	s_or_b64 s[18:19], s[18:19], s[20:21]
	v_add_u32_e32 v1, s5, v5
	s_and_b64 vcc, exec, s[18:19]
	s_mul_i32 s5, s13, s4
	s_cbranch_vccnz .LBB0_5
; %bb.1:
	s_lshr_b32 s2, s7, 7
	s_mul_i32 s13, s12, s4
	v_mov_b32_e32 v3, 0
	v_mov_b32_e32 v4, v1
	s_branch .LBB0_3
.LBB0_2:                                ;   in Loop: Header=BB0_3 Depth=1
	s_or_b64 exec, exec, s[18:19]
	s_add_i32 s2, s2, -1
	s_cmp_lg_u32 s2, 0
	v_add_u32_e32 v4, s15, v4
	s_cbranch_scc0 .LBB0_5
.LBB0_3:                                ; =>This Inner Loop Header: Depth=1
	v_cmp_gt_u32_e32 vcc, s7, v4
	s_and_saveexec_b64 s[18:19], vcc
	s_cbranch_execz .LBB0_2
; %bb.4:                                ;   in Loop: Header=BB0_3 Depth=1
	v_add_u32_e32 v2, s13, v4
	v_lshl_add_u64 v[6:7], v[2:3], 1, s[8:9]
	global_load_ushort v8, v[6:7], off
	v_add_u32_e32 v2, s5, v4
	v_lshl_add_u64 v[6:7], v[2:3], 1, s[10:11]
	s_waitcnt vmcnt(0)
	global_store_short v[6:7], v8, off
	s_branch .LBB0_2
.LBB0_5:
	s_load_dword s2, s[16:17], 0xc
	v_bfe_u32 v0, v0, 10, 10
	v_lshrrev_b32_e32 v1, 2, v1
	v_and_b32_e32 v7, 0x3ffffff0, v1
	s_waitcnt lgkmcnt(0)
	s_lshr_b32 s2, s2, 16
	s_mul_i32 s3, s3, s2
	v_add_u32_e32 v0, s3, v0
	v_lshlrev_b32_e32 v4, 4, v0
	v_max_u32_e32 v0, v7, v4
	v_cmp_gt_u32_e32 vcc, s6, v0
	s_and_saveexec_b64 s[2:3], vcc
	s_cbranch_execz .LBB0_20
; %bb.6:
	s_cmp_gt_u32 s7, 15
	v_and_b32_e32 v9, 15, v5
	v_lshrrev_b32_e32 v14, 2, v5
	s_cbranch_scc0 .LBB0_10
; %bb.7:
	v_and_b32_e32 v6, 15, v5
	v_and_b32_e32 v8, 12, v14
	s_mul_i32 s12, s12, s4
	s_mov_b32 s13, 0
	v_mov_b32_e32 v1, 0
	v_mad_u64_u32 v[10:11], s[16:17], s7, v6, v[8:9]
	v_mul_lo_u32 v2, v7, s7
	v_mov_b32_e32 v3, v1
	v_mov_b32_e32 v11, v1
	s_lshl_b64 s[12:13], s[12:13], 1
	v_lshl_add_u64 v[2:3], v[2:3], 1, s[12:13]
	v_lshlrev_b64 v[12:13], 1, v[10:11]
	v_mul_lo_u32 v0, v4, s7
	v_lshl_add_u64 v[2:3], v[2:3], 0, v[12:13]
	v_lshl_add_u64 v[10:11], s[8:9], 0, v[2:3]
	v_lshl_add_u64 v[2:3], v[0:1], 1, s[12:13]
	v_lshl_add_u64 v[2:3], v[2:3], 0, v[12:13]
	s_lshr_b32 s2, s7, 4
	v_lshl_add_u64 v[12:13], s[8:9], 0, v[2:3]
	v_mov_b32_e32 v0, v1
	v_mov_b32_e32 v2, v1
	;; [unrolled: 1-line block ×3, first 2 shown]
.LBB0_8:                                ; =>This Inner Loop Header: Depth=1
	s_barrier
	global_load_dwordx2 v[16:17], v[10:11], off
	global_load_dwordx2 v[18:19], v[12:13], off
	s_add_i32 s2, s2, -1
	v_lshl_add_u64 v[10:11], v[10:11], 0, 32
	s_cmp_eq_u32 s2, 0
	v_lshl_add_u64 v[12:13], v[12:13], 0, 32
	s_waitcnt vmcnt(0)
	v_mfma_f32_16x16x16_f16 v[0:3], v[16:17], v[18:19], v[0:3]
	s_cbranch_scc0 .LBB0_8
; %bb.9:
	s_branch .LBB0_12
.LBB0_10:
                                        ; implicit-def: $vgpr3
                                        ; implicit-def: $vgpr6
                                        ; implicit-def: $vgpr8
	s_cbranch_execz .LBB0_12
; %bb.11:
	v_and_b32_e32 v8, 12, v14
	v_mov_b32_e32 v0, 0
	v_mov_b32_e32 v6, v9
	;; [unrolled: 1-line block ×5, first 2 shown]
.LBB0_12:
	s_load_dwordx2 s[0:1], s[0:1], 0x10
	s_mul_i32 s2, s14, s4
	s_mov_b32 s3, 0
	s_lshl_b64 s[8:9], s[2:3], 2
	v_mad_u64_u32 v[10:11], s[12:13], v7, s6, v[4:5]
	s_waitcnt lgkmcnt(0)
	s_add_u32 s8, s0, s8
	s_addc_u32 s9, s1, s9
	v_mov_b32_e32 v11, 0
	v_lshl_add_u64 v[12:13], v[10:11], 2, s[8:9]
	v_mad_u64_u32 v[8:9], s[8:9], s6, v8, v[6:7]
	v_mov_b32_e32 v9, v11
	v_add_u32_e32 v10, s6, v8
	v_lshl_add_u64 v[14:15], v[8:9], 2, v[12:13]
	v_lshl_add_u64 v[8:9], v[10:11], 2, v[12:13]
	v_add_u32_e32 v10, s6, v10
	s_barrier
	global_store_dword v[14:15], v0, off
	global_store_dword v[8:9], v1, off
	v_lshl_add_u64 v[0:1], v[10:11], 2, v[12:13]
	v_add_u32_e32 v10, s6, v10
	global_store_dword v[0:1], v2, off
	v_lshl_add_u64 v[0:1], v[10:11], 2, v[12:13]
	global_store_dword v[0:1], v3, off
	v_lshrrev_b32_e32 v0, 4, v5
	v_or_b32_e32 v3, v4, v6
	v_and_or_b32 v2, v0, 3, v7
	s_add_i32 s5, s5, s7
	v_add_u32_e32 v0, s2, v3
	v_add_u32_e32 v1, s5, v3
	v_cmp_gt_u32_e32 vcc, v2, v3
	s_and_saveexec_b64 s[2:3], vcc
	s_cbranch_execz .LBB0_14
; %bb.13:
	v_mad_u64_u32 v[4:5], s[4:5], v2, s6, v[0:1]
	v_mov_b32_e32 v5, v11
	v_lshl_add_u64 v[4:5], v[4:5], 2, s[0:1]
	global_load_dword v4, v[4:5], off
	v_add_u32_e32 v5, -1, v2
	v_mul_lo_u32 v5, v5, v2
	s_waitcnt vmcnt(0)
	v_cvt_f16_f32_e32 v6, v4
	v_lshrrev_b32_e32 v4, 1, v5
	v_add_u32_e32 v10, v1, v4
	v_lshl_add_u64 v[4:5], v[10:11], 1, s[10:11]
	global_store_short v[4:5], v6, off
.LBB0_14:
	s_or_b64 exec, exec, s[2:3]
	v_or_b32_e32 v4, 4, v2
	v_cmp_gt_u32_e32 vcc, v4, v3
	s_and_saveexec_b64 s[2:3], vcc
	s_cbranch_execz .LBB0_16
; %bb.15:
	v_mad_u64_u32 v[6:7], s[4:5], v4, s6, v[0:1]
	v_mov_b32_e32 v7, 0
	v_lshl_add_u64 v[8:9], v[6:7], 2, s[0:1]
	global_load_dword v5, v[8:9], off
	v_add_u32_e32 v6, 3, v2
	v_mul_lo_u32 v4, v6, v4
	v_lshrrev_b32_e32 v4, 1, v4
	v_add_u32_e32 v6, v1, v4
	s_waitcnt vmcnt(0)
	v_cvt_f16_f32_e32 v8, v5
	v_lshl_add_u64 v[4:5], v[6:7], 1, s[10:11]
	global_store_short v[4:5], v8, off
.LBB0_16:
	s_or_b64 exec, exec, s[2:3]
	v_or_b32_e32 v4, 8, v2
	v_cmp_gt_u32_e32 vcc, v4, v3
	s_and_saveexec_b64 s[2:3], vcc
	s_cbranch_execz .LBB0_18
; %bb.17:
	v_mad_u64_u32 v[6:7], s[4:5], v4, s6, v[0:1]
	v_mov_b32_e32 v7, 0
	v_lshl_add_u64 v[8:9], v[6:7], 2, s[0:1]
	global_load_dword v5, v[8:9], off
	v_add_u32_e32 v6, 7, v2
	v_mul_lo_u32 v4, v6, v4
	v_lshrrev_b32_e32 v4, 1, v4
	v_add_u32_e32 v6, v1, v4
	s_waitcnt vmcnt(0)
	v_cvt_f16_f32_e32 v8, v5
	v_lshl_add_u64 v[4:5], v[6:7], 1, s[10:11]
	global_store_short v[4:5], v8, off
.LBB0_18:
	s_or_b64 exec, exec, s[2:3]
	v_or_b32_e32 v4, 12, v2
	v_cmp_gt_u32_e32 vcc, v4, v3
	s_and_b64 exec, exec, vcc
	s_cbranch_execz .LBB0_20
; %bb.19:
	v_mad_u64_u32 v[6:7], s[2:3], v4, s6, v[0:1]
	v_mov_b32_e32 v7, 0
	v_lshl_add_u64 v[8:9], v[6:7], 2, s[0:1]
	global_load_dword v0, v[8:9], off
	v_add_u32_e32 v2, 11, v2
	v_mul_lo_u32 v2, v2, v4
	s_waitcnt vmcnt(0)
	v_cvt_f16_f32_e32 v3, v0
	v_lshrrev_b32_e32 v0, 1, v2
	v_add_u32_e32 v6, v1, v0
	v_lshl_add_u64 v[0:1], v[6:7], 1, s[10:11]
	global_store_short v[0:1], v3, off
.LBB0_20:
	s_endpgm
	.section	.rodata,"a",@progbits
	.p2align	6, 0x0
	.amdhsa_kernel _Z12dlrm_dot_fwdPKDF16_PDF16_Pfjjjjjj
		.amdhsa_group_segment_fixed_size 0
		.amdhsa_private_segment_fixed_size 0
		.amdhsa_kernarg_size 304
		.amdhsa_user_sgpr_count 2
		.amdhsa_user_sgpr_dispatch_ptr 0
		.amdhsa_user_sgpr_queue_ptr 0
		.amdhsa_user_sgpr_kernarg_segment_ptr 1
		.amdhsa_user_sgpr_dispatch_id 0
		.amdhsa_user_sgpr_kernarg_preload_length 0
		.amdhsa_user_sgpr_kernarg_preload_offset 0
		.amdhsa_user_sgpr_private_segment_size 0
		.amdhsa_uses_dynamic_stack 0
		.amdhsa_enable_private_segment 0
		.amdhsa_system_sgpr_workgroup_id_x 1
		.amdhsa_system_sgpr_workgroup_id_y 1
		.amdhsa_system_sgpr_workgroup_id_z 1
		.amdhsa_system_sgpr_workgroup_info 0
		.amdhsa_system_vgpr_workitem_id 1
		.amdhsa_next_free_vgpr 20
		.amdhsa_next_free_sgpr 22
		.amdhsa_accum_offset 20
		.amdhsa_reserve_vcc 1
		.amdhsa_float_round_mode_32 0
		.amdhsa_float_round_mode_16_64 0
		.amdhsa_float_denorm_mode_32 3
		.amdhsa_float_denorm_mode_16_64 3
		.amdhsa_dx10_clamp 1
		.amdhsa_ieee_mode 1
		.amdhsa_fp16_overflow 0
		.amdhsa_tg_split 0
		.amdhsa_exception_fp_ieee_invalid_op 0
		.amdhsa_exception_fp_denorm_src 0
		.amdhsa_exception_fp_ieee_div_zero 0
		.amdhsa_exception_fp_ieee_overflow 0
		.amdhsa_exception_fp_ieee_underflow 0
		.amdhsa_exception_fp_ieee_inexact 0
		.amdhsa_exception_int_div_zero 0
	.end_amdhsa_kernel
	.text
.Lfunc_end0:
	.size	_Z12dlrm_dot_fwdPKDF16_PDF16_Pfjjjjjj, .Lfunc_end0-_Z12dlrm_dot_fwdPKDF16_PDF16_Pfjjjjjj
                                        ; -- End function
	.set _Z12dlrm_dot_fwdPKDF16_PDF16_Pfjjjjjj.num_vgpr, 20
	.set _Z12dlrm_dot_fwdPKDF16_PDF16_Pfjjjjjj.num_agpr, 0
	.set _Z12dlrm_dot_fwdPKDF16_PDF16_Pfjjjjjj.numbered_sgpr, 22
	.set _Z12dlrm_dot_fwdPKDF16_PDF16_Pfjjjjjj.num_named_barrier, 0
	.set _Z12dlrm_dot_fwdPKDF16_PDF16_Pfjjjjjj.private_seg_size, 0
	.set _Z12dlrm_dot_fwdPKDF16_PDF16_Pfjjjjjj.uses_vcc, 1
	.set _Z12dlrm_dot_fwdPKDF16_PDF16_Pfjjjjjj.uses_flat_scratch, 0
	.set _Z12dlrm_dot_fwdPKDF16_PDF16_Pfjjjjjj.has_dyn_sized_stack, 0
	.set _Z12dlrm_dot_fwdPKDF16_PDF16_Pfjjjjjj.has_recursion, 0
	.set _Z12dlrm_dot_fwdPKDF16_PDF16_Pfjjjjjj.has_indirect_call, 0
	.section	.AMDGPU.csdata,"",@progbits
; Kernel info:
; codeLenInByte = 1040
; TotalNumSgprs: 28
; NumVgprs: 20
; NumAgprs: 0
; TotalNumVgprs: 20
; ScratchSize: 0
; MemoryBound: 0
; FloatMode: 240
; IeeeMode: 1
; LDSByteSize: 0 bytes/workgroup (compile time only)
; SGPRBlocks: 3
; VGPRBlocks: 2
; NumSGPRsForWavesPerEU: 28
; NumVGPRsForWavesPerEU: 20
; AccumOffset: 20
; Occupancy: 8
; WaveLimiterHint : 0
; COMPUTE_PGM_RSRC2:SCRATCH_EN: 0
; COMPUTE_PGM_RSRC2:USER_SGPR: 2
; COMPUTE_PGM_RSRC2:TRAP_HANDLER: 0
; COMPUTE_PGM_RSRC2:TGID_X_EN: 1
; COMPUTE_PGM_RSRC2:TGID_Y_EN: 1
; COMPUTE_PGM_RSRC2:TGID_Z_EN: 1
; COMPUTE_PGM_RSRC2:TIDIG_COMP_CNT: 1
; COMPUTE_PGM_RSRC3_GFX90A:ACCUM_OFFSET: 4
; COMPUTE_PGM_RSRC3_GFX90A:TG_SPLIT: 0
	.text
	.p2alignl 6, 3212836864
	.fill 256, 4, 3212836864
	.section	.AMDGPU.gpr_maximums,"",@progbits
	.set amdgpu.max_num_vgpr, 0
	.set amdgpu.max_num_agpr, 0
	.set amdgpu.max_num_sgpr, 0
	.text
	.type	__hip_cuid_2f37e5bd8e8cb1a0,@object ; @__hip_cuid_2f37e5bd8e8cb1a0
	.section	.bss,"aw",@nobits
	.globl	__hip_cuid_2f37e5bd8e8cb1a0
__hip_cuid_2f37e5bd8e8cb1a0:
	.byte	0                               ; 0x0
	.size	__hip_cuid_2f37e5bd8e8cb1a0, 1

	.ident	"AMD clang version 22.0.0git (https://github.com/RadeonOpenCompute/llvm-project roc-7.2.4 26084 f58b06dce1f9c15707c5f808fd002e18c2accf7e)"
	.section	".note.GNU-stack","",@progbits
	.addrsig
	.addrsig_sym __hip_cuid_2f37e5bd8e8cb1a0
	.amdgpu_metadata
---
amdhsa.kernels:
  - .agpr_count:     0
    .args:
      - .actual_access:  read_only
        .address_space:  global
        .offset:         0
        .size:           8
        .value_kind:     global_buffer
      - .actual_access:  write_only
        .address_space:  global
        .offset:         8
        .size:           8
        .value_kind:     global_buffer
      - .address_space:  global
        .offset:         16
        .size:           8
        .value_kind:     global_buffer
      - .offset:         24
        .size:           4
        .value_kind:     by_value
      - .offset:         28
        .size:           4
        .value_kind:     by_value
      - .offset:         32
        .size:           4
        .value_kind:     by_value
      - .offset:         36
        .size:           4
        .value_kind:     by_value
      - .offset:         40
        .size:           4
        .value_kind:     by_value
      - .offset:         44
        .size:           4
        .value_kind:     by_value
      - .offset:         48
        .size:           4
        .value_kind:     hidden_block_count_x
      - .offset:         52
        .size:           4
        .value_kind:     hidden_block_count_y
      - .offset:         56
        .size:           4
        .value_kind:     hidden_block_count_z
      - .offset:         60
        .size:           2
        .value_kind:     hidden_group_size_x
      - .offset:         62
        .size:           2
        .value_kind:     hidden_group_size_y
      - .offset:         64
        .size:           2
        .value_kind:     hidden_group_size_z
      - .offset:         66
        .size:           2
        .value_kind:     hidden_remainder_x
      - .offset:         68
        .size:           2
        .value_kind:     hidden_remainder_y
      - .offset:         70
        .size:           2
        .value_kind:     hidden_remainder_z
      - .offset:         88
        .size:           8
        .value_kind:     hidden_global_offset_x
      - .offset:         96
        .size:           8
        .value_kind:     hidden_global_offset_y
      - .offset:         104
        .size:           8
        .value_kind:     hidden_global_offset_z
      - .offset:         112
        .size:           2
        .value_kind:     hidden_grid_dims
    .group_segment_fixed_size: 0
    .kernarg_segment_align: 8
    .kernarg_segment_size: 304
    .language:       OpenCL C
    .language_version:
      - 2
      - 0
    .max_flat_workgroup_size: 1024
    .name:           _Z12dlrm_dot_fwdPKDF16_PDF16_Pfjjjjjj
    .private_segment_fixed_size: 0
    .sgpr_count:     28
    .sgpr_spill_count: 0
    .symbol:         _Z12dlrm_dot_fwdPKDF16_PDF16_Pfjjjjjj.kd
    .uniform_work_group_size: 1
    .uses_dynamic_stack: false
    .vgpr_count:     20
    .vgpr_spill_count: 0
    .wavefront_size: 64
amdhsa.target:   amdgcn-amd-amdhsa--gfx950
amdhsa.version:
  - 1
  - 2
...

	.end_amdgpu_metadata
